;; amdgpu-corpus repo=ROCm/rocFFT kind=compiled arch=gfx1030 opt=O3
	.text
	.amdgcn_target "amdgcn-amd-amdhsa--gfx1030"
	.amdhsa_code_object_version 6
	.protected	fft_rtc_back_len847_factors_11_7_11_wgs_231_tpt_77_halfLds_dp_ip_CI_unitstride_sbrr_dirReg ; -- Begin function fft_rtc_back_len847_factors_11_7_11_wgs_231_tpt_77_halfLds_dp_ip_CI_unitstride_sbrr_dirReg
	.globl	fft_rtc_back_len847_factors_11_7_11_wgs_231_tpt_77_halfLds_dp_ip_CI_unitstride_sbrr_dirReg
	.p2align	8
	.type	fft_rtc_back_len847_factors_11_7_11_wgs_231_tpt_77_halfLds_dp_ip_CI_unitstride_sbrr_dirReg,@function
fft_rtc_back_len847_factors_11_7_11_wgs_231_tpt_77_halfLds_dp_ip_CI_unitstride_sbrr_dirReg: ; @fft_rtc_back_len847_factors_11_7_11_wgs_231_tpt_77_halfLds_dp_ip_CI_unitstride_sbrr_dirReg
; %bb.0:
	s_load_dwordx4 s[8:11], s[4:5], 0x0
	v_mul_u32_u24_e32 v1, 0x354, v0
	s_clause 0x1
	s_load_dwordx2 s[2:3], s[4:5], 0x50
	s_load_dwordx2 s[12:13], s[4:5], 0x18
	v_lshrrev_b32_e32 v2, 16, v1
	v_mov_b32_e32 v1, 0
	v_mad_u64_u32 v[44:45], null, s6, 3, v[2:3]
	v_mov_b32_e32 v45, v1
	v_mov_b32_e32 v3, 0
	;; [unrolled: 1-line block ×4, first 2 shown]
	s_waitcnt lgkmcnt(0)
	v_cmp_lt_u64_e64 s0, s[10:11], 2
	v_mov_b32_e32 v8, v45
	s_and_b32 vcc_lo, exec_lo, s0
	s_cbranch_vccnz .LBB0_8
; %bb.1:
	s_load_dwordx2 s[0:1], s[4:5], 0x10
	v_mov_b32_e32 v3, 0
	v_mov_b32_e32 v5, v44
	s_add_u32 s6, s12, 8
	v_mov_b32_e32 v4, 0
	v_mov_b32_e32 v6, v45
	s_addc_u32 s7, s13, 0
	s_mov_b64 s[16:17], 1
	s_waitcnt lgkmcnt(0)
	s_add_u32 s14, s0, 8
	s_addc_u32 s15, s1, 0
.LBB0_2:                                ; =>This Inner Loop Header: Depth=1
	s_load_dwordx2 s[18:19], s[14:15], 0x0
                                        ; implicit-def: $vgpr7_vgpr8
	s_mov_b32 s0, exec_lo
	s_waitcnt lgkmcnt(0)
	v_or_b32_e32 v2, s19, v6
	v_cmpx_ne_u64_e32 0, v[1:2]
	s_xor_b32 s1, exec_lo, s0
	s_cbranch_execz .LBB0_4
; %bb.3:                                ;   in Loop: Header=BB0_2 Depth=1
	v_cvt_f32_u32_e32 v2, s18
	v_cvt_f32_u32_e32 v7, s19
	s_sub_u32 s0, 0, s18
	s_subb_u32 s20, 0, s19
	v_fmac_f32_e32 v2, 0x4f800000, v7
	v_rcp_f32_e32 v2, v2
	v_mul_f32_e32 v2, 0x5f7ffffc, v2
	v_mul_f32_e32 v7, 0x2f800000, v2
	v_trunc_f32_e32 v7, v7
	v_fmac_f32_e32 v2, 0xcf800000, v7
	v_cvt_u32_f32_e32 v7, v7
	v_cvt_u32_f32_e32 v2, v2
	v_mul_lo_u32 v8, s0, v7
	v_mul_hi_u32 v9, s0, v2
	v_mul_lo_u32 v10, s20, v2
	v_add_nc_u32_e32 v8, v9, v8
	v_mul_lo_u32 v9, s0, v2
	v_add_nc_u32_e32 v8, v8, v10
	v_mul_hi_u32 v10, v2, v9
	v_mul_lo_u32 v11, v2, v8
	v_mul_hi_u32 v12, v2, v8
	v_mul_hi_u32 v13, v7, v9
	v_mul_lo_u32 v9, v7, v9
	v_mul_hi_u32 v14, v7, v8
	v_mul_lo_u32 v8, v7, v8
	v_add_co_u32 v10, vcc_lo, v10, v11
	v_add_co_ci_u32_e32 v11, vcc_lo, 0, v12, vcc_lo
	v_add_co_u32 v9, vcc_lo, v10, v9
	v_add_co_ci_u32_e32 v9, vcc_lo, v11, v13, vcc_lo
	v_add_co_ci_u32_e32 v10, vcc_lo, 0, v14, vcc_lo
	v_add_co_u32 v8, vcc_lo, v9, v8
	v_add_co_ci_u32_e32 v9, vcc_lo, 0, v10, vcc_lo
	v_add_co_u32 v2, vcc_lo, v2, v8
	v_add_co_ci_u32_e32 v7, vcc_lo, v7, v9, vcc_lo
	v_mul_hi_u32 v8, s0, v2
	v_mul_lo_u32 v10, s20, v2
	v_mul_lo_u32 v9, s0, v7
	v_add_nc_u32_e32 v8, v8, v9
	v_mul_lo_u32 v9, s0, v2
	v_add_nc_u32_e32 v8, v8, v10
	v_mul_hi_u32 v10, v2, v9
	v_mul_lo_u32 v11, v2, v8
	v_mul_hi_u32 v12, v2, v8
	v_mul_hi_u32 v13, v7, v9
	v_mul_lo_u32 v9, v7, v9
	v_mul_hi_u32 v14, v7, v8
	v_mul_lo_u32 v8, v7, v8
	v_add_co_u32 v10, vcc_lo, v10, v11
	v_add_co_ci_u32_e32 v11, vcc_lo, 0, v12, vcc_lo
	v_add_co_u32 v9, vcc_lo, v10, v9
	v_add_co_ci_u32_e32 v9, vcc_lo, v11, v13, vcc_lo
	v_add_co_ci_u32_e32 v10, vcc_lo, 0, v14, vcc_lo
	v_add_co_u32 v8, vcc_lo, v9, v8
	v_add_co_ci_u32_e32 v9, vcc_lo, 0, v10, vcc_lo
	v_add_co_u32 v2, vcc_lo, v2, v8
	v_add_co_ci_u32_e32 v11, vcc_lo, v7, v9, vcc_lo
	v_mul_hi_u32 v13, v5, v2
	v_mad_u64_u32 v[9:10], null, v6, v2, 0
	v_mad_u64_u32 v[7:8], null, v5, v11, 0
	v_mad_u64_u32 v[11:12], null, v6, v11, 0
	v_add_co_u32 v2, vcc_lo, v13, v7
	v_add_co_ci_u32_e32 v7, vcc_lo, 0, v8, vcc_lo
	v_add_co_u32 v2, vcc_lo, v2, v9
	v_add_co_ci_u32_e32 v2, vcc_lo, v7, v10, vcc_lo
	v_add_co_ci_u32_e32 v7, vcc_lo, 0, v12, vcc_lo
	v_add_co_u32 v2, vcc_lo, v2, v11
	v_add_co_ci_u32_e32 v9, vcc_lo, 0, v7, vcc_lo
	v_mul_lo_u32 v10, s19, v2
	v_mad_u64_u32 v[7:8], null, s18, v2, 0
	v_mul_lo_u32 v11, s18, v9
	v_sub_co_u32 v7, vcc_lo, v5, v7
	v_add3_u32 v8, v8, v11, v10
	v_sub_nc_u32_e32 v10, v6, v8
	v_subrev_co_ci_u32_e64 v10, s0, s19, v10, vcc_lo
	v_add_co_u32 v11, s0, v2, 2
	v_add_co_ci_u32_e64 v12, s0, 0, v9, s0
	v_sub_co_u32 v13, s0, v7, s18
	v_sub_co_ci_u32_e32 v8, vcc_lo, v6, v8, vcc_lo
	v_subrev_co_ci_u32_e64 v10, s0, 0, v10, s0
	v_cmp_le_u32_e32 vcc_lo, s18, v13
	v_cmp_eq_u32_e64 s0, s19, v8
	v_cndmask_b32_e64 v13, 0, -1, vcc_lo
	v_cmp_le_u32_e32 vcc_lo, s19, v10
	v_cndmask_b32_e64 v14, 0, -1, vcc_lo
	v_cmp_le_u32_e32 vcc_lo, s18, v7
	;; [unrolled: 2-line block ×3, first 2 shown]
	v_cndmask_b32_e64 v15, 0, -1, vcc_lo
	v_cmp_eq_u32_e32 vcc_lo, s19, v10
	v_cndmask_b32_e64 v7, v15, v7, s0
	v_cndmask_b32_e32 v10, v14, v13, vcc_lo
	v_add_co_u32 v13, vcc_lo, v2, 1
	v_add_co_ci_u32_e32 v14, vcc_lo, 0, v9, vcc_lo
	v_cmp_ne_u32_e32 vcc_lo, 0, v10
	v_cndmask_b32_e32 v8, v14, v12, vcc_lo
	v_cndmask_b32_e32 v10, v13, v11, vcc_lo
	v_cmp_ne_u32_e32 vcc_lo, 0, v7
	v_cndmask_b32_e32 v8, v9, v8, vcc_lo
	v_cndmask_b32_e32 v7, v2, v10, vcc_lo
.LBB0_4:                                ;   in Loop: Header=BB0_2 Depth=1
	s_andn2_saveexec_b32 s0, s1
	s_cbranch_execz .LBB0_6
; %bb.5:                                ;   in Loop: Header=BB0_2 Depth=1
	v_cvt_f32_u32_e32 v2, s18
	s_sub_i32 s1, 0, s18
	v_rcp_iflag_f32_e32 v2, v2
	v_mul_f32_e32 v2, 0x4f7ffffe, v2
	v_cvt_u32_f32_e32 v2, v2
	v_mul_lo_u32 v7, s1, v2
	v_mul_hi_u32 v7, v2, v7
	v_add_nc_u32_e32 v2, v2, v7
	v_mul_hi_u32 v2, v5, v2
	v_mul_lo_u32 v7, v2, s18
	v_add_nc_u32_e32 v8, 1, v2
	v_sub_nc_u32_e32 v7, v5, v7
	v_subrev_nc_u32_e32 v9, s18, v7
	v_cmp_le_u32_e32 vcc_lo, s18, v7
	v_cndmask_b32_e32 v7, v7, v9, vcc_lo
	v_cndmask_b32_e32 v2, v2, v8, vcc_lo
	v_cmp_le_u32_e32 vcc_lo, s18, v7
	v_add_nc_u32_e32 v8, 1, v2
	v_cndmask_b32_e32 v7, v2, v8, vcc_lo
	v_mov_b32_e32 v8, v1
.LBB0_6:                                ;   in Loop: Header=BB0_2 Depth=1
	s_or_b32 exec_lo, exec_lo, s0
	s_load_dwordx2 s[0:1], s[6:7], 0x0
	v_mul_lo_u32 v2, v8, s18
	v_mul_lo_u32 v11, v7, s19
	v_mad_u64_u32 v[9:10], null, v7, s18, 0
	s_add_u32 s16, s16, 1
	s_addc_u32 s17, s17, 0
	s_add_u32 s6, s6, 8
	s_addc_u32 s7, s7, 0
	;; [unrolled: 2-line block ×3, first 2 shown]
	v_add3_u32 v2, v10, v11, v2
	v_sub_co_u32 v5, vcc_lo, v5, v9
	v_sub_co_ci_u32_e32 v2, vcc_lo, v6, v2, vcc_lo
	s_waitcnt lgkmcnt(0)
	v_mul_lo_u32 v6, s1, v5
	v_mul_lo_u32 v2, s0, v2
	v_mad_u64_u32 v[3:4], null, s0, v5, v[3:4]
	v_cmp_ge_u64_e64 s0, s[16:17], s[10:11]
	s_and_b32 vcc_lo, exec_lo, s0
	v_add3_u32 v4, v6, v4, v2
	s_cbranch_vccnz .LBB0_8
; %bb.7:                                ;   in Loop: Header=BB0_2 Depth=1
	v_mov_b32_e32 v5, v7
	v_mov_b32_e32 v6, v8
	s_branch .LBB0_2
.LBB0_8:
	s_lshl_b64 s[0:1], s[10:11], 3
	v_mov_b32_e32 v66, 0
	s_add_u32 s0, s12, s0
	s_addc_u32 s1, s13, s1
	v_mov_b32_e32 v67, 0
	s_load_dwordx2 s[0:1], s[0:1], 0x0
	s_load_dwordx2 s[4:5], s[4:5], 0x20
                                        ; implicit-def: $vgpr10_vgpr11
                                        ; implicit-def: $vgpr22_vgpr23
                                        ; implicit-def: $vgpr30_vgpr31
                                        ; implicit-def: $vgpr18_vgpr19
                                        ; implicit-def: $vgpr26_vgpr27
                                        ; implicit-def: $vgpr34_vgpr35
                                        ; implicit-def: $vgpr38_vgpr39
                                        ; implicit-def: $vgpr42_vgpr43
                                        ; implicit-def: $vgpr14_vgpr15
	s_waitcnt lgkmcnt(0)
	v_mul_lo_u32 v5, s0, v8
	v_mul_lo_u32 v6, s1, v7
	v_mad_u64_u32 v[1:2], null, s0, v7, v[3:4]
	v_mul_hi_u32 v3, 0x3531ded, v0
	v_cmp_gt_u64_e32 vcc_lo, s[4:5], v[7:8]
	v_add3_u32 v2, v6, v2, v5
                                        ; implicit-def: $vgpr6_vgpr7
	v_mul_u32_u24_e32 v3, 0x4d, v3
	v_lshlrev_b64 v[64:65], 4, v[1:2]
	v_sub_nc_u32_e32 v68, v0, v3
                                        ; implicit-def: $vgpr2_vgpr3
	s_and_saveexec_b32 s1, vcc_lo
	s_cbranch_execz .LBB0_10
; %bb.9:
	v_mov_b32_e32 v69, 0
	v_add_co_u32 v2, s0, s2, v64
	v_add_co_ci_u32_e64 v3, s0, s3, v65, s0
	v_lshlrev_b64 v[0:1], 4, v[68:69]
	v_mov_b32_e32 v66, v68
	v_mov_b32_e32 v67, v69
	v_add_co_u32 v0, s0, v2, v0
	v_add_co_ci_u32_e64 v1, s0, v3, v1, s0
	v_add_co_u32 v2, s0, 0x800, v0
	v_add_co_ci_u32_e64 v3, s0, 0, v1, s0
	v_add_co_u32 v4, s0, 0x1000, v0
	v_add_co_ci_u32_e64 v5, s0, 0, v1, s0
	v_add_co_u32 v6, s0, 0x1800, v0
	v_add_co_ci_u32_e64 v7, s0, 0, v1, s0
	s_clause 0x5
	global_load_dwordx4 v[12:15], v[0:1], off
	global_load_dwordx4 v[40:43], v[0:1], off offset:1232
	global_load_dwordx4 v[36:39], v[2:3], off offset:416
	;; [unrolled: 1-line block ×5, first 2 shown]
	v_add_co_u32 v2, s0, 0x2000, v0
	v_add_co_ci_u32_e64 v3, s0, 0, v1, s0
	v_add_co_u32 v4, s0, 0x2800, v0
	v_add_co_ci_u32_e64 v5, s0, 0, v1, s0
	;; [unrolled: 2-line block ×3, first 2 shown]
	s_clause 0x4
	global_load_dwordx4 v[28:31], v[6:7], off offset:1248
	global_load_dwordx4 v[20:23], v[2:3], off offset:432
	;; [unrolled: 1-line block ×5, first 2 shown]
.LBB0_10:
	s_or_b32 exec_lo, exec_lo, s1
	s_waitcnt vmcnt(9)
	v_add_f64 v[45:46], v[40:41], v[12:13]
	s_waitcnt vmcnt(0)
	v_add_f64 v[47:48], v[42:43], -v[2:3]
	s_mov_b32 s24, 0x8eee2c13
	s_mov_b32 s16, 0x43842ef
	;; [unrolled: 1-line block ×8, first 2 shown]
	v_add_f64 v[49:50], v[0:1], v[40:41]
	v_add_f64 v[51:52], v[38:39], -v[6:7]
	s_mov_b32 s34, 0xf8bb580b
	s_mov_b32 s35, 0xbfe14ced
	;; [unrolled: 1-line block ×10, first 2 shown]
	v_add_f64 v[45:46], v[36:37], v[45:46]
	v_mul_f64 v[73:74], v[47:48], s[24:25]
	v_mul_f64 v[77:78], v[47:48], s[16:17]
	v_mul_f64 v[79:80], v[47:48], s[20:21]
	v_mul_f64 v[81:82], v[47:48], s[22:23]
	v_mul_f64 v[47:48], v[47:48], s[34:35]
	s_mov_b32 s27, 0x3fe14ced
	s_mov_b32 s30, s22
	;; [unrolled: 1-line block ×6, first 2 shown]
	v_add_f64 v[53:54], v[4:5], v[36:37]
	v_add_f64 v[55:56], v[34:35], -v[10:11]
	v_mul_f64 v[75:76], v[51:52], s[20:21]
	v_mul_f64 v[83:84], v[51:52], s[30:31]
	;; [unrolled: 1-line block ×5, first 2 shown]
	s_mov_b32 s14, 0x8764f0ba
	s_mov_b32 s15, 0x3feaeb8c
	s_mov_b32 s19, 0x3fed1bb4
	v_add_f64 v[45:46], v[32:33], v[45:46]
	v_fma_f64 v[113:114], v[49:50], s[4:5], v[73:74]
	v_fma_f64 v[115:116], v[49:50], s[6:7], v[77:78]
	v_fma_f64 v[117:118], v[49:50], s[10:11], v[79:80]
	v_fma_f64 v[119:120], v[49:50], s[12:13], v[81:82]
	v_fma_f64 v[79:80], v[49:50], s[10:11], -v[79:80]
	v_fma_f64 v[81:82], v[49:50], s[12:13], -v[81:82]
	;; [unrolled: 1-line block ×4, first 2 shown]
	v_fma_f64 v[121:122], v[49:50], s[14:15], v[47:48]
	v_fma_f64 v[47:48], v[49:50], s[14:15], -v[47:48]
	s_mov_b32 s18, s24
	v_add_f64 v[57:58], v[8:9], v[32:33]
	v_add_f64 v[59:60], v[26:27], -v[22:23]
	v_mul_f64 v[85:86], v[55:56], s[30:31]
	v_mul_f64 v[87:88], v[55:56], s[18:19]
	;; [unrolled: 1-line block ×5, first 2 shown]
	v_fma_f64 v[55:56], v[53:54], s[10:11], v[75:76]
	v_fma_f64 v[123:124], v[53:54], s[12:13], v[83:84]
	;; [unrolled: 1-line block ×3, first 2 shown]
	v_add_f64 v[45:46], v[24:25], v[45:46]
	v_fma_f64 v[127:128], v[53:54], s[14:15], v[99:100]
	v_fma_f64 v[129:130], v[53:54], s[4:5], v[51:52]
	v_fma_f64 v[51:52], v[53:54], s[4:5], -v[51:52]
	v_fma_f64 v[75:76], v[53:54], s[10:11], -v[75:76]
	;; [unrolled: 1-line block ×5, first 2 shown]
	v_add_f64 v[99:100], v[12:13], v[113:114]
	v_add_f64 v[113:114], v[12:13], v[115:116]
	;; [unrolled: 1-line block ×11, first 2 shown]
	v_add_f64 v[69:70], v[18:19], -v[30:31]
	v_mul_f64 v[89:90], v[59:60], s[28:29]
	v_mul_f64 v[91:92], v[59:60], s[34:35]
	v_add_f64 v[45:46], v[16:17], v[45:46]
	v_mul_f64 v[105:106], v[59:60], s[22:23]
	v_mul_f64 v[107:108], v[59:60], s[18:19]
	;; [unrolled: 1-line block ×3, first 2 shown]
	v_fma_f64 v[59:60], v[57:58], s[12:13], v[85:86]
	v_fma_f64 v[121:122], v[57:58], s[4:5], v[87:88]
	;; [unrolled: 1-line block ×4, first 2 shown]
	v_add_f64 v[55:56], v[55:56], v[99:100]
	v_add_f64 v[99:100], v[123:124], v[113:114]
	v_fma_f64 v[135:136], v[57:58], s[6:7], v[49:50]
	v_fma_f64 v[49:50], v[57:58], s[6:7], -v[49:50]
	v_fma_f64 v[85:86], v[57:58], s[12:13], -v[85:86]
	;; [unrolled: 1-line block ×5, first 2 shown]
	v_add_f64 v[103:104], v[125:126], v[115:116]
	v_add_f64 v[113:114], v[127:128], v[117:118]
	;; [unrolled: 1-line block ×10, first 2 shown]
	v_mul_f64 v[93:94], v[69:70], s[26:27]
	v_mul_f64 v[95:96], v[69:70], s[20:21]
	;; [unrolled: 1-line block ×5, first 2 shown]
	v_fma_f64 v[69:70], v[61:62], s[6:7], v[89:90]
	v_fma_f64 v[77:78], v[61:62], s[14:15], v[91:92]
	v_add_f64 v[55:56], v[59:60], v[55:56]
	v_add_f64 v[59:60], v[121:122], v[99:100]
	v_fma_f64 v[81:82], v[61:62], s[12:13], v[105:106]
	v_fma_f64 v[83:84], v[61:62], s[4:5], v[107:108]
	;; [unrolled: 1-line block ×3, first 2 shown]
	v_fma_f64 v[105:106], v[61:62], s[12:13], -v[105:106]
	v_fma_f64 v[107:108], v[61:62], s[4:5], -v[107:108]
	;; [unrolled: 1-line block ×5, first 2 shown]
	v_add_f64 v[91:92], v[131:132], v[103:104]
	v_add_f64 v[45:46], v[20:21], v[45:46]
	v_add_f64 v[99:100], v[133:134], v[113:114]
	v_add_f64 v[79:80], v[101:102], v[79:80]
	v_add_f64 v[53:54], v[57:58], v[53:54]
	v_add_f64 v[57:58], v[85:86], v[73:74]
	v_add_f64 v[73:74], v[87:88], v[75:76]
	v_add_f64 v[12:13], v[49:50], v[12:13]
	v_add_f64 v[103:104], v[135:136], v[115:116]
	v_mul_hi_u32 v63, 0xaaaaaaab, v44
	v_fma_f64 v[49:50], v[71:72], s[14:15], v[93:94]
	v_fma_f64 v[75:76], v[71:72], s[10:11], v[95:96]
	v_add_f64 v[55:56], v[69:70], v[55:56]
	v_add_f64 v[59:60], v[77:78], v[59:60]
	v_fma_f64 v[85:86], v[71:72], s[4:5], v[109:110]
	v_fma_f64 v[87:88], v[71:72], s[6:7], v[111:112]
	v_fma_f64 v[109:110], v[71:72], s[4:5], -v[109:110]
	v_fma_f64 v[111:112], v[71:72], s[6:7], -v[111:112]
	v_fma_f64 v[101:102], v[71:72], s[12:13], v[51:52]
	v_fma_f64 v[51:52], v[71:72], s[12:13], -v[51:52]
	v_fma_f64 v[93:94], v[71:72], s[14:15], -v[93:94]
	;; [unrolled: 1-line block ×3, first 2 shown]
	v_add_f64 v[69:70], v[81:82], v[91:92]
	v_add_f64 v[45:46], v[8:9], v[45:46]
	v_add_f64 v[77:78], v[83:84], v[99:100]
	v_add_f64 v[83:84], v[105:106], v[79:80]
	v_add_f64 v[53:54], v[107:108], v[53:54]
	v_add_f64 v[57:58], v[89:90], v[57:58]
	v_add_f64 v[61:62], v[61:62], v[73:74]
	v_add_f64 v[12:13], v[47:48], v[12:13]
	v_add_f64 v[81:82], v[97:98], v[103:104]
	v_lshrrev_b32_e32 v63, 1, v63
	v_cmp_gt_u32_e64 s0, 44, v68
	v_add_f64 v[48:49], v[49:50], v[55:56]
	v_add_f64 v[55:56], v[75:76], v[59:60]
	v_lshl_add_u32 v63, v63, 1, v63
	v_sub_nc_u32_e32 v44, v44, v63
	v_add_f64 v[59:60], v[85:86], v[69:70]
	v_add_f64 v[73:74], v[4:5], v[45:46]
	v_mul_u32_u24_e32 v80, 0x34f, v44
	v_add_f64 v[75:76], v[87:88], v[77:78]
	v_add_f64 v[44:45], v[109:110], v[83:84]
	;; [unrolled: 1-line block ×5, first 2 shown]
	v_lshl_add_u32 v63, v80, 3, 0
	v_add_f64 v[46:47], v[51:52], v[12:13]
	v_add_f64 v[85:86], v[101:102], v[81:82]
	v_mad_u32_u24 v12, 0x58, v68, v63
	v_lshl_add_u32 v79, v68, 3, v63
	v_mad_i32_i24 v77, 0xffffffb0, v68, v12
	v_add_nc_u32_e32 v78, 0x800, v77
	v_add_f64 v[50:51], v[0:1], v[73:74]
	v_add_nc_u32_e32 v81, 0x1000, v77
                                        ; implicit-def: $vgpr73_vgpr74
	ds_write2_b64 v12, v[48:49], v[55:56] offset0:2 offset1:3
	ds_write2_b64 v12, v[59:60], v[75:76] offset0:4 offset1:5
	;; [unrolled: 1-line block ×4, first 2 shown]
	ds_write_b64 v12, v[46:47] offset:80
	ds_write2_b64 v12, v[50:51], v[85:86] offset1:1
	s_waitcnt lgkmcnt(0)
	s_barrier
	buffer_gl0_inv
	ds_read_b64 v[75:76], v79
	ds_read2_b64 v[56:59], v77 offset0:121 offset1:242
	ds_read2_b64 v[52:55], v78 offset0:107 offset1:228
	;; [unrolled: 1-line block ×3, first 2 shown]
                                        ; implicit-def: $vgpr50_vgpr51
	s_and_saveexec_b32 s1, s0
	s_cbranch_execz .LBB0_12
; %bb.11:
	ds_read2_b64 v[44:47], v78 offset0:63 offset1:184
	ds_read2_b64 v[82:85], v77 offset0:77 offset1:198
	;; [unrolled: 1-line block ×3, first 2 shown]
	ds_read_b64 v[73:74], v77 offset:6424
	s_waitcnt lgkmcnt(3)
	v_mov_b32_e32 v70, v45
	v_mov_b32_e32 v69, v44
	s_waitcnt lgkmcnt(2)
	v_mov_b32_e32 v71, v84
	v_mov_b32_e32 v44, v82
	;; [unrolled: 1-line block ×4, first 2 shown]
.LBB0_12:
	s_or_b32 exec_lo, exec_lo, s1
	v_add_f64 v[82:83], v[42:43], v[14:15]
	v_add_f64 v[0:1], v[40:41], -v[0:1]
	v_add_f64 v[8:9], v[32:33], -v[8:9]
	;; [unrolled: 1-line block ×3, first 2 shown]
	v_add_f64 v[36:37], v[2:3], v[42:43]
	v_add_f64 v[16:17], v[16:17], -v[28:29]
	v_add_f64 v[20:21], v[24:25], -v[20:21]
	v_add_f64 v[24:25], v[6:7], v[38:39]
	v_add_f64 v[40:41], v[30:31], v[18:19]
	s_waitcnt lgkmcnt(0)
	s_barrier
	buffer_gl0_inv
	v_add_f64 v[82:83], v[38:39], v[82:83]
	v_mul_f64 v[28:29], v[0:1], s[34:35]
	v_mul_f64 v[42:43], v[0:1], s[24:25]
	v_mul_f64 v[84:85], v[0:1], s[20:21]
	v_add_f64 v[38:39], v[22:23], v[26:27]
	v_mul_f64 v[86:87], v[4:5], s[24:25]
	v_mul_f64 v[88:89], v[4:5], s[20:21]
	;; [unrolled: 1-line block ×15, first 2 shown]
	v_add_f64 v[32:33], v[34:35], v[82:83]
	v_mul_f64 v[82:83], v[0:1], s[16:17]
	v_mul_f64 v[0:1], v[0:1], s[22:23]
	v_fma_f64 v[112:113], v[36:37], s[14:15], -v[28:29]
	v_fma_f64 v[114:115], v[36:37], s[4:5], -v[42:43]
	v_fma_f64 v[42:43], v[36:37], s[4:5], v[42:43]
	v_fma_f64 v[118:119], v[36:37], s[10:11], -v[84:85]
	v_fma_f64 v[84:85], v[36:37], s[10:11], v[84:85]
	v_fma_f64 v[28:29], v[36:37], s[14:15], v[28:29]
	v_add_f64 v[34:35], v[10:11], v[34:35]
	v_fma_f64 v[122:123], v[24:25], s[10:11], -v[88:89]
	v_fma_f64 v[88:89], v[24:25], s[10:11], v[88:89]
	v_fma_f64 v[124:125], v[24:25], s[12:13], -v[90:91]
	v_fma_f64 v[90:91], v[24:25], s[12:13], v[90:91]
	;; [unrolled: 2-line block ×4, first 2 shown]
	v_add_f64 v[26:27], v[26:27], v[32:33]
	v_fma_f64 v[116:117], v[36:37], s[6:7], -v[82:83]
	v_fma_f64 v[120:121], v[36:37], s[12:13], -v[0:1]
	v_fma_f64 v[0:1], v[36:37], s[12:13], v[0:1]
	v_fma_f64 v[82:83], v[36:37], s[6:7], v[82:83]
	v_mul_f64 v[32:33], v[8:9], s[30:31]
	v_mul_f64 v[8:9], v[8:9], s[20:21]
	v_fma_f64 v[36:37], v[24:25], s[4:5], -v[86:87]
	v_fma_f64 v[86:87], v[24:25], s[4:5], v[86:87]
	v_add_f64 v[24:25], v[14:15], v[112:113]
	v_add_f64 v[112:113], v[14:15], v[114:115]
	v_add_f64 v[42:43], v[14:15], v[42:43]
	v_add_f64 v[84:85], v[14:15], v[84:85]
	v_fma_f64 v[130:131], v[34:35], s[4:5], -v[96:97]
	v_fma_f64 v[96:97], v[34:35], s[4:5], v[96:97]
	v_fma_f64 v[132:133], v[34:35], s[14:15], -v[98:99]
	v_fma_f64 v[98:99], v[34:35], s[14:15], v[98:99]
	v_add_f64 v[18:19], v[18:19], v[26:27]
	v_add_f64 v[114:115], v[14:15], v[116:117]
	;; [unrolled: 1-line block ×7, first 2 shown]
	v_fma_f64 v[120:121], v[34:35], s[12:13], -v[32:33]
	v_fma_f64 v[32:33], v[34:35], s[12:13], v[32:33]
	v_fma_f64 v[134:135], v[34:35], s[10:11], -v[8:9]
	v_fma_f64 v[8:9], v[34:35], s[10:11], v[8:9]
	v_add_f64 v[24:25], v[36:37], v[24:25]
	v_add_f64 v[36:37], v[88:89], v[42:43]
	;; [unrolled: 1-line block ×3, first 2 shown]
	v_mul_f64 v[26:27], v[16:17], s[20:21]
	v_mul_f64 v[28:29], v[16:17], s[18:19]
	;; [unrolled: 1-line block ×3, first 2 shown]
	v_add_f64 v[18:19], v[30:31], v[18:19]
	v_fma_f64 v[30:31], v[34:35], s[6:7], -v[94:95]
	v_fma_f64 v[94:95], v[34:35], s[6:7], v[94:95]
	v_add_f64 v[34:35], v[122:123], v[112:113]
	v_add_f64 v[42:43], v[124:125], v[114:115]
	;; [unrolled: 1-line block ×7, first 2 shown]
	v_fma_f64 v[82:83], v[38:39], s[10:11], v[100:101]
	v_fma_f64 v[86:87], v[38:39], s[6:7], -v[102:103]
	v_fma_f64 v[90:91], v[38:39], s[6:7], v[102:103]
	v_add_f64 v[32:33], v[32:33], v[36:37]
	v_fma_f64 v[102:103], v[38:39], s[14:15], v[104:105]
	v_fma_f64 v[112:113], v[38:39], s[4:5], -v[20:21]
	v_fma_f64 v[20:21], v[38:39], s[4:5], v[20:21]
	v_add_f64 v[18:19], v[22:23], v[18:19]
	v_fma_f64 v[22:23], v[38:39], s[10:11], -v[100:101]
	v_fma_f64 v[100:101], v[38:39], s[14:15], -v[104:105]
	v_add_f64 v[24:25], v[30:31], v[24:25]
	v_add_f64 v[30:31], v[120:121], v[34:35]
	;; [unrolled: 1-line block ×3, first 2 shown]
	v_fma_f64 v[104:105], v[38:39], s[12:13], -v[106:107]
	v_fma_f64 v[106:107], v[38:39], s[12:13], v[106:107]
	v_add_f64 v[36:37], v[132:133], v[88:89]
	v_add_f64 v[38:39], v[98:99], v[84:85]
	;; [unrolled: 1-line block ×6, first 2 shown]
	v_fma_f64 v[13:14], v[40:41], s[12:13], -v[108:109]
	v_fma_f64 v[84:85], v[40:41], s[14:15], -v[110:111]
	;; [unrolled: 1-line block ×3, first 2 shown]
	v_fma_f64 v[88:89], v[40:41], s[14:15], v[110:111]
	v_fma_f64 v[94:95], v[40:41], s[4:5], -v[28:29]
	v_fma_f64 v[28:29], v[40:41], s[4:5], v[28:29]
	v_fma_f64 v[96:97], v[40:41], s[6:7], -v[15:16]
	v_fma_f64 v[15:16], v[40:41], s[6:7], v[15:16]
	v_add_f64 v[10:11], v[10:11], v[18:19]
	v_fma_f64 v[26:27], v[40:41], s[10:11], v[26:27]
	v_fma_f64 v[17:18], v[40:41], s[12:13], v[108:109]
	v_add_f64 v[22:23], v[22:23], v[24:25]
	v_add_f64 v[24:25], v[86:87], v[30:31]
	;; [unrolled: 1-line block ×21, first 2 shown]
                                        ; implicit-def: $vgpr8_vgpr9
	v_add_f64 v[2:3], v[2:3], v[6:7]
	ds_write2_b64 v12, v[13:14], v[19:20] offset0:2 offset1:3
	ds_write2_b64 v12, v[30:31], v[28:29] offset0:4 offset1:5
	;; [unrolled: 1-line block ×4, first 2 shown]
	ds_write_b64 v12, v[4:5] offset:80
	ds_write2_b64 v12, v[2:3], v[10:11] offset1:1
	s_waitcnt lgkmcnt(0)
	s_barrier
	buffer_gl0_inv
	ds_read_b64 v[0:1], v79
	ds_read2_b64 v[10:13], v77 offset0:121 offset1:242
	ds_read2_b64 v[18:21], v78 offset0:107 offset1:228
	;; [unrolled: 1-line block ×3, first 2 shown]
                                        ; implicit-def: $vgpr28_vgpr29
	s_and_saveexec_b32 s1, s0
	s_cbranch_execz .LBB0_14
; %bb.13:
	v_add_nc_u32_e32 v2, 0x800, v77
	v_add_nc_u32_e32 v6, 0x1000, v77
	ds_read2_b64 v[24:27], v77 offset0:77 offset1:198
	ds_read2_b64 v[2:5], v2 offset0:63 offset1:184
	ds_read_b64 v[28:29], v77 offset:6424
	ds_read2_b64 v[6:9], v6 offset0:49 offset1:170
	s_waitcnt lgkmcnt(3)
	v_mov_b32_e32 v22, v24
	v_mov_b32_e32 v23, v25
	s_waitcnt lgkmcnt(2)
	v_mov_b32_e32 v25, v3
	v_mov_b32_e32 v24, v2
.LBB0_14:
	s_or_b32 exec_lo, exec_lo, s1
	v_and_b32_e32 v2, 0xff, v68
	s_mov_b32 s4, 0x37e14327
	s_mov_b32 s10, 0xe976ee23
	;; [unrolled: 1-line block ×4, first 2 shown]
	v_mul_lo_u16 v2, 0x75, v2
	s_mov_b32 s11, 0x3fe11646
	s_mov_b32 s7, 0xbfebfeb5
	s_mov_b32 s12, 0x36b3c0b5
	s_mov_b32 s13, 0x3fac98ee
	v_lshrrev_b16 v2, 8, v2
	s_mov_b32 s14, 0xaaaaaaaa
	s_mov_b32 s16, 0x5476071b
	;; [unrolled: 1-line block ×4, first 2 shown]
	v_sub_nc_u16 v3, v68, v2
	s_mov_b32 s17, 0x3fe77f67
	s_mov_b32 s19, 0xbfe77f67
	;; [unrolled: 1-line block ×4, first 2 shown]
	v_lshrrev_b16 v3, 1, v3
	s_mov_b32 s18, s16
	s_mov_b32 s22, s20
	;; [unrolled: 1-line block ×4, first 2 shown]
	v_and_b32_e32 v3, 0x7f, v3
	v_add_nc_u16 v2, v3, v2
	v_mov_b32_e32 v3, 6
	v_lshrrev_b16 v126, 3, v2
	v_mul_lo_u16 v2, v126, 11
	v_sub_nc_u16 v127, v68, v2
	v_mul_u32_u24_sdwa v2, v127, v3 dst_sel:DWORD dst_unused:UNUSED_PAD src0_sel:BYTE_0 src1_sel:DWORD
	v_lshlrev_b32_e32 v2, 4, v2
	s_clause 0x5
	global_load_dwordx4 v[40:43], v2, s[8:9]
	global_load_dwordx4 v[36:39], v2, s[8:9] offset:16
	global_load_dwordx4 v[82:85], v2, s[8:9] offset:80
	global_load_dwordx4 v[86:89], v2, s[8:9] offset:64
	global_load_dwordx4 v[90:93], v2, s[8:9] offset:32
	global_load_dwordx4 v[94:97], v2, s[8:9] offset:48
	v_add_nc_u16 v2, v68, 0x4d
	v_and_b32_e32 v30, 0xff, v2
	v_mul_lo_u16 v30, 0x75, v30
	v_lshrrev_b16 v30, 8, v30
	v_sub_nc_u16 v31, v2, v30
	v_lshrrev_b16 v31, 1, v31
	v_and_b32_e32 v31, 0x7f, v31
	v_add_nc_u16 v30, v31, v30
	v_lshrrev_b16 v128, 3, v30
	v_mul_lo_u16 v30, v128, 11
	v_sub_nc_u16 v81, v2, v30
	v_mul_u32_u24_sdwa v2, v81, v3 dst_sel:DWORD dst_unused:UNUSED_PAD src0_sel:BYTE_0 src1_sel:DWORD
	v_lshlrev_b32_e32 v2, 4, v2
	s_clause 0x5
	global_load_dwordx4 v[98:101], v2, s[8:9]
	global_load_dwordx4 v[102:105], v2, s[8:9] offset:16
	global_load_dwordx4 v[106:109], v2, s[8:9] offset:32
	;; [unrolled: 1-line block ×5, first 2 shown]
	s_waitcnt vmcnt(0) lgkmcnt(0)
	s_barrier
	buffer_gl0_inv
	v_mul_f64 v[2:3], v[10:11], v[42:43]
	v_mul_f64 v[30:31], v[12:13], v[38:39]
	;; [unrolled: 1-line block ×12, first 2 shown]
	v_fma_f64 v[2:3], v[56:57], v[40:41], v[2:3]
	v_fma_f64 v[32:33], v[58:59], v[36:37], v[30:31]
	v_fma_f64 v[30:31], v[62:63], v[82:83], v[34:35]
	v_fma_f64 v[34:35], v[60:61], v[86:87], v[77:78]
	v_fma_f64 v[10:11], v[10:11], v[40:41], -v[42:43]
	v_fma_f64 v[36:37], v[12:13], v[36:37], -v[38:39]
	v_fma_f64 v[12:13], v[52:53], v[90:91], v[122:123]
	v_fma_f64 v[18:19], v[18:19], v[90:91], -v[92:93]
	v_fma_f64 v[38:39], v[14:15], v[86:87], -v[88:89]
	v_fma_f64 v[14:15], v[54:55], v[94:95], v[124:125]
	v_fma_f64 v[20:21], v[20:21], v[94:95], -v[96:97]
	v_fma_f64 v[16:17], v[16:17], v[82:83], -v[84:85]
	v_add_f64 v[40:41], v[2:3], v[30:31]
	v_add_f64 v[42:43], v[32:33], v[34:35]
	v_add_f64 v[52:53], v[36:37], -v[38:39]
	v_add_f64 v[54:55], v[12:13], v[14:15]
	v_add_f64 v[56:57], v[20:21], -v[18:19]
	v_add_f64 v[58:59], v[10:11], -v[16:17]
	v_mul_f64 v[88:89], v[4:5], v[108:109]
	v_add_f64 v[60:61], v[42:43], v[40:41]
	v_mul_f64 v[90:91], v[46:47], v[108:109]
	v_mul_f64 v[92:93], v[6:7], v[112:113]
	;; [unrolled: 1-line block ×4, first 2 shown]
	v_add_f64 v[62:63], v[40:41], -v[54:55]
	v_add_f64 v[77:78], v[56:57], -v[52:53]
	;; [unrolled: 1-line block ×3, first 2 shown]
	v_add_f64 v[52:53], v[56:57], v[52:53]
	v_add_f64 v[56:57], v[58:59], -v[56:57]
	v_add_f64 v[40:41], v[42:43], -v[40:41]
	v_add_f64 v[60:61], v[54:55], v[60:61]
	v_add_f64 v[54:55], v[54:55], -v[42:43]
	v_mul_f64 v[62:63], v[62:63], s[4:5]
	v_mul_f64 v[77:78], v[77:78], s[10:11]
	;; [unrolled: 1-line block ×3, first 2 shown]
	v_add_f64 v[52:53], v[52:53], v[58:59]
	v_add_f64 v[86:87], v[75:76], v[60:61]
	v_mul_f64 v[42:43], v[54:55], s[12:13]
	v_fma_f64 v[54:55], v[54:55], s[12:13], v[62:63]
	v_fma_f64 v[58:59], v[56:57], s[20:21], v[77:78]
	v_fma_f64 v[75:76], v[82:83], s[6:7], -v[77:78]
	v_fma_f64 v[56:57], v[56:57], s[22:23], -v[84:85]
	;; [unrolled: 1-line block ×3, first 2 shown]
	v_mul_f64 v[77:78], v[71:72], v[100:101]
	v_mul_f64 v[82:83], v[24:25], v[104:105]
	;; [unrolled: 1-line block ×4, first 2 shown]
	v_fma_f64 v[60:61], v[60:61], s[14:15], v[86:87]
	v_fma_f64 v[40:41], v[40:41], s[16:17], -v[42:43]
	v_mul_f64 v[42:43], v[26:27], v[100:101]
	v_mul_f64 v[100:101], v[50:51], v[116:117]
	v_fma_f64 v[50:51], v[50:51], v[114:115], v[96:97]
	v_fma_f64 v[58:59], v[52:53], s[24:25], v[58:59]
	;; [unrolled: 1-line block ×4, first 2 shown]
	v_fma_f64 v[75:76], v[24:25], v[102:103], -v[84:85]
	v_fma_f64 v[24:25], v[46:47], v[106:107], v[88:89]
	v_fma_f64 v[46:47], v[4:5], v[106:107], -v[90:91]
	v_mov_b32_e32 v4, 3
	v_add_f64 v[54:55], v[54:55], v[60:61]
	v_add_f64 v[56:57], v[62:63], v[60:61]
	v_mul_f64 v[62:63], v[73:74], v[120:121]
	v_add_f64 v[60:61], v[40:41], v[60:61]
	v_fma_f64 v[40:41], v[71:72], v[98:99], v[42:43]
	v_fma_f64 v[71:72], v[26:27], v[98:99], -v[77:78]
	v_fma_f64 v[26:27], v[69:70], v[102:103], v[82:83]
	v_fma_f64 v[42:43], v[48:49], v[110:111], v[92:93]
	v_fma_f64 v[48:49], v[6:7], v[110:111], -v[94:95]
	v_fma_f64 v[77:78], v[8:9], v[114:115], -v[100:101]
	v_fma_f64 v[8:9], v[73:74], v[118:119], v[104:105]
	v_and_b32_e32 v7, 0xffff, v126
	v_lshlrev_b32_e32 v74, 3, v80
	v_and_b32_e32 v80, 0xffff, v128
	v_mad_u32_u24 v7, 0x268, v7, 0
	v_add_f64 v[5:6], v[58:59], v[54:55]
	v_add_f64 v[69:70], v[52:53], v[56:57]
	v_fma_f64 v[28:29], v[28:29], v[118:119], -v[62:63]
	v_add_f64 v[83:84], v[60:61], -v[108:109]
	v_add_f64 v[60:61], v[108:109], v[60:61]
	v_add_f64 v[52:53], v[56:57], -v[52:53]
	v_add_f64 v[54:55], v[54:55], -v[58:59]
	v_lshlrev_b32_sdwa v56, v4, v127 dst_sel:DWORD dst_unused:UNUSED_PAD src0_sel:DWORD src1_sel:BYTE_0
	v_add3_u32 v82, v7, v56, v74
	ds_write2_b64 v82, v[86:87], v[5:6] offset1:11
	ds_write2_b64 v82, v[69:70], v[83:84] offset0:22 offset1:33
	ds_write2_b64 v82, v[60:61], v[52:53] offset0:44 offset1:55
	ds_write_b64 v82, v[54:55] offset:528
	s_and_saveexec_b32 s1, s0
	s_cbranch_execz .LBB0_16
; %bb.15:
	v_add_f64 v[5:6], v[26:27], v[50:51]
	v_add_f64 v[52:53], v[40:41], v[8:9]
	v_add_f64 v[54:55], v[48:49], -v[46:47]
	v_add_f64 v[56:57], v[75:76], -v[77:78]
	v_add_f64 v[58:59], v[24:25], v[42:43]
	v_add_f64 v[60:61], v[71:72], -v[28:29]
	v_mad_u32_u24 v7, 0x268, v80, 0
	v_lshlrev_b32_sdwa v4, v4, v81 dst_sel:DWORD dst_unused:UNUSED_PAD src0_sel:DWORD src1_sel:BYTE_0
	v_add3_u32 v4, v7, v4, v74
	v_add_f64 v[62:63], v[5:6], v[52:53]
	v_add_f64 v[69:70], v[54:55], -v[56:57]
	v_add_f64 v[83:84], v[52:53], -v[58:59]
	;; [unrolled: 1-line block ×3, first 2 shown]
	v_add_f64 v[56:57], v[54:55], v[56:57]
	v_add_f64 v[54:55], v[60:61], -v[54:55]
	v_add_f64 v[62:63], v[58:59], v[62:63]
	v_add_f64 v[58:59], v[58:59], -v[5:6]
	v_add_f64 v[5:6], v[5:6], -v[52:53]
	v_mul_f64 v[52:53], v[69:70], s[10:11]
	v_mul_f64 v[69:70], v[83:84], s[4:5]
	;; [unrolled: 1-line block ×3, first 2 shown]
	v_add_f64 v[56:57], v[56:57], v[60:61]
	v_add_f64 v[44:45], v[44:45], v[62:63]
	v_mul_f64 v[87:88], v[58:59], s[12:13]
	v_fma_f64 v[60:61], v[54:55], s[20:21], v[52:53]
	v_fma_f64 v[58:59], v[58:59], s[12:13], v[69:70]
	v_fma_f64 v[89:90], v[5:6], s[18:19], -v[69:70]
	v_fma_f64 v[54:55], v[54:55], s[22:23], -v[83:84]
	v_fma_f64 v[52:53], v[85:86], s[6:7], -v[52:53]
	v_fma_f64 v[62:63], v[62:63], s[14:15], v[44:45]
	v_fma_f64 v[5:6], v[5:6], s[16:17], -v[87:88]
	v_fma_f64 v[60:61], v[56:57], s[24:25], v[60:61]
	v_fma_f64 v[54:55], v[56:57], s[24:25], v[54:55]
	;; [unrolled: 1-line block ×3, first 2 shown]
	v_add_f64 v[58:59], v[58:59], v[62:63]
	v_add_f64 v[56:57], v[89:90], v[62:63]
	v_add_f64 v[5:6], v[5:6], v[62:63]
	v_add_f64 v[83:84], v[60:61], v[58:59]
	v_add_f64 v[62:63], v[56:57], -v[54:55]
	v_add_f64 v[69:70], v[5:6], -v[52:53]
	v_add_f64 v[54:55], v[54:55], v[56:57]
	v_add_f64 v[5:6], v[52:53], v[5:6]
	v_add_f64 v[52:53], v[58:59], -v[60:61]
	ds_write2_b64 v4, v[44:45], v[83:84] offset1:11
	ds_write2_b64 v4, v[54:55], v[69:70] offset0:22 offset1:33
	ds_write2_b64 v4, v[5:6], v[62:63] offset0:44 offset1:55
	ds_write_b64 v4, v[52:53] offset:528
.LBB0_16:
	s_or_b32 exec_lo, exec_lo, s1
	v_add_f64 v[4:5], v[10:11], v[16:17]
	v_add_f64 v[6:7], v[36:37], v[38:39]
	v_add_f64 v[10:11], v[32:33], -v[34:35]
	v_add_f64 v[16:17], v[18:19], v[20:21]
	v_add_f64 v[12:13], v[14:15], -v[12:13]
	v_add_f64 v[2:3], v[2:3], -v[30:31]
	s_waitcnt lgkmcnt(0)
	s_barrier
	buffer_gl0_inv
	ds_read_b64 v[69:70], v79
	v_add_f64 v[14:15], v[6:7], v[4:5]
	v_add_f64 v[18:19], v[4:5], -v[16:17]
	v_add_f64 v[20:21], v[12:13], -v[10:11]
	;; [unrolled: 1-line block ×3, first 2 shown]
	v_add_f64 v[10:11], v[12:13], v[10:11]
	v_add_f64 v[12:13], v[2:3], -v[12:13]
	v_add_f64 v[14:15], v[16:17], v[14:15]
	v_add_f64 v[16:17], v[16:17], -v[6:7]
	v_mul_f64 v[18:19], v[18:19], s[4:5]
	v_mul_f64 v[20:21], v[20:21], s[10:11]
	;; [unrolled: 1-line block ×3, first 2 shown]
	v_add_f64 v[2:3], v[10:11], v[2:3]
	v_add_f64 v[34:35], v[0:1], v[14:15]
	v_add_f64 v[0:1], v[6:7], -v[4:5]
	v_mul_f64 v[4:5], v[16:17], s[12:13]
	v_fma_f64 v[6:7], v[16:17], s[12:13], v[18:19]
	v_fma_f64 v[10:11], v[12:13], s[20:21], v[20:21]
	v_fma_f64 v[16:17], v[30:31], s[6:7], -v[20:21]
	v_fma_f64 v[12:13], v[12:13], s[22:23], -v[32:33]
	v_fma_f64 v[14:15], v[14:15], s[14:15], v[34:35]
	v_fma_f64 v[18:19], v[0:1], s[18:19], -v[18:19]
	v_fma_f64 v[0:1], v[0:1], s[16:17], -v[4:5]
	v_fma_f64 v[4:5], v[2:3], s[24:25], v[10:11]
	v_fma_f64 v[10:11], v[2:3], s[24:25], v[16:17]
	;; [unrolled: 1-line block ×3, first 2 shown]
	v_add_f64 v[6:7], v[6:7], v[14:15]
	v_add_f64 v[16:17], v[18:19], v[14:15]
	v_add_f64 v[14:15], v[0:1], v[14:15]
	v_lshlrev_b32_e32 v0, 3, v68
	v_add3_u32 v73, 0, v0, v74
	v_add_nc_u32_e32 v18, 0x400, v73
	v_add_nc_u32_e32 v32, 0x800, v73
	;; [unrolled: 1-line block ×4, first 2 shown]
	ds_read2_b64 v[0:3], v73 offset0:77 offset1:154
	ds_read2_b64 v[52:55], v18 offset0:103 offset1:180
	v_add_f64 v[18:19], v[6:7], -v[4:5]
	v_add_f64 v[20:21], v[16:17], -v[12:13]
	v_add_f64 v[30:31], v[10:11], v[14:15]
	v_add_f64 v[10:11], v[14:15], -v[10:11]
	v_add_f64 v[14:15], v[4:5], v[6:7]
	ds_read2_b64 v[60:63], v32 offset0:129 offset1:206
	ds_read2_b64 v[56:59], v33 offset0:27 offset1:104
	;; [unrolled: 1-line block ×3, first 2 shown]
	v_add_f64 v[12:13], v[12:13], v[16:17]
	s_waitcnt lgkmcnt(0)
	s_barrier
	buffer_gl0_inv
	ds_write2_b64 v82, v[34:35], v[18:19] offset1:11
	ds_write2_b64 v82, v[20:21], v[30:31] offset0:22 offset1:33
	ds_write2_b64 v82, v[10:11], v[12:13] offset0:44 offset1:55
	ds_write_b64 v82, v[14:15] offset:528
	s_and_saveexec_b32 s1, s0
	s_cbranch_execz .LBB0_18
; %bb.17:
	v_add_f64 v[10:11], v[71:72], v[28:29]
	v_add_f64 v[12:13], v[75:76], v[77:78]
	;; [unrolled: 1-line block ×3, first 2 shown]
	v_add_f64 v[16:17], v[26:27], -v[50:51]
	v_add_f64 v[18:19], v[42:43], -v[24:25]
	;; [unrolled: 1-line block ×3, first 2 shown]
	s_mov_b32 s6, 0x36b3c0b5
	s_mov_b32 s7, 0x3fac98ee
	;; [unrolled: 1-line block ×6, first 2 shown]
	v_add_f64 v[20:21], v[12:13], v[10:11]
	v_add_f64 v[24:25], v[10:11], -v[14:15]
	v_add_f64 v[26:27], v[14:15], -v[12:13]
	;; [unrolled: 1-line block ×5, first 2 shown]
	v_add_f64 v[12:13], v[18:19], v[16:17]
	v_add_f64 v[16:17], v[8:9], -v[18:19]
	v_add_f64 v[14:15], v[14:15], v[20:21]
	v_mul_f64 v[18:19], v[24:25], s[4:5]
	s_mov_b32 s4, 0x429ad128
	v_mul_f64 v[20:21], v[26:27], s[6:7]
	v_mul_f64 v[24:25], v[28:29], s[10:11]
	s_mov_b32 s5, 0xbfebfeb5
	s_mov_b32 s10, 0xaaaaaaaa
	v_mul_f64 v[28:29], v[30:31], s[4:5]
	s_mov_b32 s11, 0xbff2aaaa
	v_add_f64 v[8:9], v[12:13], v[8:9]
	v_add_f64 v[22:23], v[22:23], v[14:15]
	v_fma_f64 v[12:13], v[26:27], s[6:7], v[18:19]
	v_fma_f64 v[20:21], v[10:11], s[12:13], -v[20:21]
	s_mov_b32 s13, 0xbfe77f67
	v_fma_f64 v[26:27], v[16:17], s[14:15], v[24:25]
	s_mov_b32 s15, 0x3fd5d0dc
	v_fma_f64 v[24:25], v[30:31], s[4:5], -v[24:25]
	v_fma_f64 v[16:17], v[16:17], s[14:15], -v[28:29]
	;; [unrolled: 1-line block ×3, first 2 shown]
	s_mov_b32 s4, 0x37c3f68c
	s_mov_b32 s5, 0xbfdc38aa
	v_fma_f64 v[14:15], v[14:15], s[10:11], v[22:23]
	v_fma_f64 v[18:19], v[8:9], s[4:5], v[26:27]
	;; [unrolled: 1-line block ×4, first 2 shown]
	v_add_f64 v[12:13], v[12:13], v[14:15]
	v_add_f64 v[10:11], v[10:11], v[14:15]
	;; [unrolled: 1-line block ×3, first 2 shown]
	v_add_f64 v[16:17], v[12:13], -v[18:19]
	v_add_f64 v[20:21], v[10:11], -v[8:9]
	v_add_f64 v[26:27], v[24:25], v[14:15]
	v_add_f64 v[14:15], v[14:15], -v[24:25]
	v_add_f64 v[8:9], v[8:9], v[10:11]
	v_add_f64 v[10:11], v[18:19], v[12:13]
	v_mov_b32_e32 v12, 3
	v_mad_u32_u24 v13, 0x268, v80, 0
	v_lshlrev_b32_sdwa v12, v12, v81 dst_sel:DWORD dst_unused:UNUSED_PAD src0_sel:DWORD src1_sel:BYTE_0
	v_add3_u32 v12, v13, v12, v74
	ds_write2_b64 v12, v[22:23], v[16:17] offset1:11
	ds_write2_b64 v12, v[20:21], v[26:27] offset0:22 offset1:33
	ds_write2_b64 v12, v[14:15], v[8:9] offset0:44 offset1:55
	ds_write_b64 v12, v[10:11] offset:528
.LBB0_18:
	s_or_b32 exec_lo, exec_lo, s1
	s_waitcnt lgkmcnt(0)
	s_barrier
	buffer_gl0_inv
	s_and_saveexec_b32 s0, vcc_lo
	s_cbranch_execz .LBB0_20
; %bb.19:
	v_mul_u32_u24_e32 v8, 10, v68
	v_lshlrev_b64 v[90:91], 4, v[66:67]
	v_add_co_u32 v64, vcc_lo, s2, v64
	v_add_nc_u32_e32 v68, 0x800, v73
	v_lshlrev_b32_e32 v36, 4, v8
	v_add_co_ci_u32_e32 v65, vcc_lo, s3, v65, vcc_lo
	v_add_nc_u32_e32 v71, 0x400, v73
	v_add_nc_u32_e32 v72, 0x1000, v73
	s_clause 0x9
	global_load_dwordx4 v[12:15], v36, s[8:9] offset:1120
	global_load_dwordx4 v[8:11], v36, s[8:9] offset:1136
	;; [unrolled: 1-line block ×10, first 2 shown]
	ds_read2_b64 v[48:51], v73 offset0:77 offset1:154
	v_add_nc_u32_e32 v73, 0x1400, v73
	v_add_co_u32 v64, vcc_lo, v64, v90
	ds_read_b64 v[66:67], v79
	ds_read2_b64 v[74:77], v68 offset0:129 offset1:206
	ds_read2_b64 v[78:81], v71 offset0:103 offset1:180
	ds_read2_b64 v[82:85], v72 offset0:27 offset1:104
	ds_read2_b64 v[86:89], v73 offset0:53 offset1:130
	v_add_co_ci_u32_e32 v65, vcc_lo, v65, v91, vcc_lo
	s_mov_b32 s16, 0x43842ef
	s_mov_b32 s14, 0xbb3a28a1
	;; [unrolled: 1-line block ×26, first 2 shown]
	v_add_co_u32 v100, vcc_lo, 0x800, v64
	v_add_co_ci_u32_e32 v101, vcc_lo, 0, v65, vcc_lo
	s_waitcnt vmcnt(9)
	v_mul_f64 v[71:72], v[60:61], v[12:13]
	s_waitcnt vmcnt(8)
	v_mul_f64 v[90:91], v[62:63], v[8:9]
	v_mul_f64 v[60:61], v[60:61], v[14:15]
	;; [unrolled: 1-line block ×3, first 2 shown]
	s_waitcnt vmcnt(5)
	v_mul_f64 v[96:97], v[52:53], v[28:29]
	v_mul_f64 v[52:53], v[52:53], v[30:31]
	s_waitcnt vmcnt(3)
	v_mul_f64 v[102:103], v[0:1], v[44:45]
	v_mul_f64 v[0:1], v[0:1], v[46:47]
	;; [unrolled: 3-line block ×3, first 2 shown]
	s_waitcnt vmcnt(1)
	v_mul_f64 v[106:107], v[2:3], v[32:33]
	s_waitcnt vmcnt(0)
	v_mul_f64 v[108:109], v[4:5], v[36:37]
	v_mul_f64 v[2:3], v[2:3], v[34:35]
	;; [unrolled: 1-line block ×9, first 2 shown]
	s_waitcnt lgkmcnt(3)
	v_fma_f64 v[14:15], v[74:75], v[14:15], v[71:72]
	v_fma_f64 v[10:11], v[76:77], v[10:11], v[90:91]
	v_fma_f64 v[12:13], v[74:75], v[12:13], -v[60:61]
	v_fma_f64 v[8:9], v[76:77], v[8:9], -v[62:63]
	s_waitcnt lgkmcnt(2)
	v_fma_f64 v[30:31], v[78:79], v[30:31], v[96:97]
	v_fma_f64 v[28:29], v[78:79], v[28:29], -v[52:53]
	v_add_co_u32 v52, vcc_lo, 0x1000, v64
	v_fma_f64 v[0:1], v[48:49], v[44:45], -v[0:1]
	v_fma_f64 v[44:45], v[48:49], v[46:47], v[102:103]
	s_waitcnt lgkmcnt(0)
	v_fma_f64 v[40:41], v[88:89], v[40:41], -v[6:7]
	v_fma_f64 v[6:7], v[50:51], v[34:35], v[106:107]
	v_fma_f64 v[34:35], v[86:87], v[38:39], v[108:109]
	v_fma_f64 v[2:3], v[50:51], v[32:33], -v[2:3]
	v_fma_f64 v[4:5], v[86:87], v[36:37], -v[4:5]
	v_fma_f64 v[22:23], v[80:81], v[22:23], v[92:93]
	v_fma_f64 v[18:19], v[82:83], v[18:19], v[94:95]
	;; [unrolled: 1-line block ×3, first 2 shown]
	v_fma_f64 v[20:21], v[80:81], v[20:21], -v[54:55]
	v_fma_f64 v[16:17], v[82:83], v[16:17], -v[56:57]
	;; [unrolled: 1-line block ×3, first 2 shown]
	v_fma_f64 v[46:47], v[88:89], v[42:43], v[104:105]
	v_add_co_ci_u32_e32 v53, vcc_lo, 0, v65, vcc_lo
	v_add_f64 v[32:33], v[14:15], -v[10:11]
	v_add_f64 v[42:43], v[12:13], -v[8:9]
	v_add_f64 v[54:55], v[12:13], v[8:9]
	v_add_f64 v[60:61], v[14:15], v[10:11]
	v_add_co_u32 v48, vcc_lo, 0x1800, v64
	v_add_f64 v[75:76], v[66:67], v[0:1]
	v_add_f64 v[77:78], v[69:70], v[44:45]
	v_add_f64 v[81:82], v[0:1], v[40:41]
	v_add_f64 v[0:1], v[0:1], -v[40:41]
	v_add_f64 v[83:84], v[6:7], -v[34:35]
	v_add_f64 v[89:90], v[6:7], v[34:35]
	v_add_f64 v[85:86], v[2:3], v[4:5]
	v_add_f64 v[87:88], v[2:3], -v[4:5]
	v_add_f64 v[36:37], v[22:23], -v[18:19]
	;; [unrolled: 1-line block ×3, first 2 shown]
	v_add_f64 v[62:63], v[22:23], v[18:19]
	v_add_f64 v[50:51], v[20:21], -v[16:17]
	v_add_f64 v[71:72], v[28:29], -v[24:25]
	;; [unrolled: 1-line block ×3, first 2 shown]
	v_add_f64 v[56:57], v[20:21], v[16:17]
	v_add_f64 v[58:59], v[28:29], v[24:25]
	;; [unrolled: 1-line block ×4, first 2 shown]
	v_mul_f64 v[91:92], v[32:33], s[16:17]
	v_mul_f64 v[97:98], v[42:43], s[16:17]
	;; [unrolled: 1-line block ×4, first 2 shown]
	v_add_f64 v[2:3], v[2:3], v[75:76]
	v_add_f64 v[6:7], v[6:7], v[77:78]
	v_mul_f64 v[114:115], v[32:33], s[14:15]
	v_mul_f64 v[120:121], v[42:43], s[14:15]
	;; [unrolled: 1-line block ×20, first 2 shown]
	v_add_f64 v[2:3], v[28:29], v[2:3]
	v_add_f64 v[6:7], v[30:31], v[6:7]
	v_mul_f64 v[50:51], v[50:51], s[14:15]
	v_mul_f64 v[134:135], v[71:72], s[14:15]
	;; [unrolled: 1-line block ×14, first 2 shown]
	s_mov_b32 s13, 0xbfed1bb4
	v_mul_f64 v[154:155], v[83:84], s[18:19]
	v_mul_f64 v[79:80], v[79:80], s[12:13]
	v_mul_f64 v[0:1], v[0:1], s[12:13]
	v_mul_f64 v[156:157], v[83:84], s[22:23]
	v_mul_f64 v[158:159], v[83:84], s[26:27]
	v_add_f64 v[2:3], v[20:21], v[2:3]
	v_add_f64 v[6:7], v[22:23], v[6:7]
	v_mul_f64 v[160:161], v[83:84], s[14:15]
	v_mul_f64 v[162:163], v[87:88], s[18:19]
	v_mul_f64 v[164:165], v[87:88], s[22:23]
	v_mul_f64 v[166:167], v[87:88], s[26:27]
	v_mul_f64 v[168:169], v[87:88], s[14:15]
	v_mul_f64 v[83:84], v[83:84], s[12:13]
	v_mul_f64 v[87:88], v[87:88], s[12:13]
	v_fma_f64 v[170:171], v[54:55], s[4:5], v[91:92]
	v_fma_f64 v[172:173], v[56:57], s[0:1], v[93:94]
	v_fma_f64 v[174:175], v[58:59], s[6:7], v[95:96]
	v_fma_f64 v[176:177], v[60:61], s[4:5], -v[97:98]
	v_fma_f64 v[91:92], v[54:55], s[4:5], -v[91:92]
	v_fma_f64 v[93:94], v[56:57], s[0:1], -v[93:94]
	v_fma_f64 v[95:96], v[58:59], s[6:7], -v[95:96]
	v_fma_f64 v[97:98], v[60:61], s[4:5], v[97:98]
	v_fma_f64 v[178:179], v[54:55], s[0:1], v[104:105]
	v_fma_f64 v[180:181], v[56:57], s[10:11], v[106:107]
	v_fma_f64 v[182:183], v[58:59], s[8:9], v[108:109]
	v_fma_f64 v[184:185], v[60:61], s[0:1], -v[110:111]
	v_fma_f64 v[104:105], v[54:55], s[0:1], -v[104:105]
	v_fma_f64 v[106:107], v[56:57], s[10:11], -v[106:107]
	v_fma_f64 v[108:109], v[58:59], s[8:9], -v[108:109]
	v_fma_f64 v[110:111], v[60:61], s[0:1], v[110:111]
	;; [unrolled: 8-line block ×4, first 2 shown]
	v_fma_f64 v[202:203], v[54:55], s[10:11], v[32:33]
	v_fma_f64 v[32:33], v[54:55], s[10:11], -v[32:33]
	v_fma_f64 v[54:55], v[56:57], s[6:7], v[36:37]
	v_fma_f64 v[36:37], v[56:57], s[6:7], -v[36:37]
	;; [unrolled: 2-line block ×3, first 2 shown]
	v_fma_f64 v[58:59], v[60:61], s[10:11], -v[42:43]
	v_fma_f64 v[42:43], v[60:61], s[10:11], v[42:43]
	v_fma_f64 v[60:61], v[62:63], s[0:1], -v[102:103]
	v_fma_f64 v[102:103], v[62:63], s[0:1], v[102:103]
	;; [unrolled: 2-line block ×11, first 2 shown]
	v_fma_f64 v[28:29], v[81:82], s[10:11], v[75:76]
	v_fma_f64 v[30:31], v[81:82], s[10:11], -v[75:76]
	v_fma_f64 v[73:74], v[81:82], s[6:7], v[77:78]
	v_fma_f64 v[75:76], v[81:82], s[6:7], -v[77:78]
	v_fma_f64 v[77:78], v[81:82], s[4:5], v[142:143]
	v_fma_f64 v[220:221], v[81:82], s[8:9], v[144:145]
	v_fma_f64 v[144:145], v[81:82], s[8:9], -v[144:145]
	v_fma_f64 v[222:223], v[44:45], s[10:11], -v[146:147]
	v_fma_f64 v[146:147], v[44:45], s[10:11], v[146:147]
	v_fma_f64 v[224:225], v[44:45], s[6:7], -v[148:149]
	v_fma_f64 v[148:149], v[44:45], s[6:7], v[148:149]
	v_fma_f64 v[228:229], v[44:45], s[8:9], -v[152:153]
	v_fma_f64 v[152:153], v[44:45], s[8:9], v[152:153]
	v_fma_f64 v[142:143], v[81:82], s[4:5], -v[142:143]
	v_fma_f64 v[226:227], v[44:45], s[4:5], -v[150:151]
	v_fma_f64 v[150:151], v[44:45], s[4:5], v[150:151]
	v_fma_f64 v[242:243], v[81:82], s[0:1], v[79:80]
	v_fma_f64 v[79:80], v[81:82], s[0:1], -v[79:80]
	v_fma_f64 v[81:82], v[44:45], s[0:1], -v[0:1]
	v_fma_f64 v[0:1], v[44:45], s[0:1], v[0:1]
	v_add_f64 v[2:3], v[12:13], v[2:3]
	v_add_f64 v[6:7], v[14:15], v[6:7]
	v_fma_f64 v[230:231], v[85:86], s[8:9], v[154:155]
	v_fma_f64 v[154:155], v[85:86], s[8:9], -v[154:155]
	v_fma_f64 v[232:233], v[85:86], s[4:5], v[156:157]
	v_fma_f64 v[156:157], v[85:86], s[4:5], -v[156:157]
	v_fma_f64 v[20:21], v[85:86], s[10:11], v[158:159]
	v_fma_f64 v[22:23], v[85:86], s[10:11], -v[158:159]
	v_fma_f64 v[158:159], v[85:86], s[6:7], v[160:161]
	v_fma_f64 v[160:161], v[85:86], s[6:7], -v[160:161]
	v_fma_f64 v[234:235], v[89:90], s[8:9], -v[162:163]
	v_fma_f64 v[162:163], v[89:90], s[8:9], v[162:163]
	v_fma_f64 v[236:237], v[89:90], s[4:5], -v[164:165]
	v_fma_f64 v[164:165], v[89:90], s[4:5], v[164:165]
	;; [unrolled: 2-line block ×4, first 2 shown]
	v_fma_f64 v[44:45], v[85:86], s[0:1], v[83:84]
	v_fma_f64 v[83:84], v[85:86], s[0:1], -v[83:84]
	v_fma_f64 v[85:86], v[89:90], s[0:1], -v[87:88]
	v_fma_f64 v[87:88], v[89:90], s[0:1], v[87:88]
	v_add_f64 v[12:13], v[66:67], v[28:29]
	v_add_f64 v[14:15], v[69:70], v[222:223]
	v_add_f64 v[28:29], v[66:67], v[30:31]
	v_add_f64 v[30:31], v[69:70], v[146:147]
	v_add_f64 v[73:74], v[66:67], v[73:74]
	v_add_f64 v[89:90], v[69:70], v[224:225]
	v_add_f64 v[75:76], v[66:67], v[75:76]
	v_add_f64 v[146:147], v[69:70], v[148:149]
	v_add_f64 v[77:78], v[66:67], v[77:78]
	v_add_f64 v[144:145], v[66:67], v[144:145]
	v_add_f64 v[152:153], v[69:70], v[152:153]
	v_add_f64 v[142:143], v[66:67], v[142:143]
	v_add_f64 v[150:151], v[69:70], v[150:151]
	v_add_f64 v[148:149], v[69:70], v[226:227]
	v_add_f64 v[220:221], v[66:67], v[220:221]
	v_add_f64 v[224:225], v[66:67], v[242:243]
	v_add_f64 v[66:67], v[66:67], v[79:80]
	v_add_f64 v[0:1], v[69:70], v[0:1]
	v_add_f64 v[222:223], v[69:70], v[228:229]
	v_add_f64 v[81:82], v[69:70], v[81:82]
	v_add_f64 v[2:3], v[8:9], v[2:3]
	v_add_f64 v[6:7], v[10:11], v[6:7]
	v_add_f64 v[8:9], v[230:231], v[12:13]
	v_add_f64 v[10:11], v[234:235], v[14:15]
	v_add_f64 v[12:13], v[154:155], v[28:29]
	v_add_f64 v[14:15], v[162:163], v[30:31]
	v_add_f64 v[28:29], v[232:233], v[73:74]
	v_add_f64 v[30:31], v[236:237], v[89:90]
	v_add_f64 v[68:69], v[156:157], v[75:76]
	v_add_f64 v[73:74], v[164:165], v[146:147]
	v_add_f64 v[20:21], v[20:21], v[77:78]
	v_add_f64 v[77:78], v[83:84], v[144:145]
	v_add_f64 v[79:80], v[87:88], v[152:153]
	v_add_f64 v[22:23], v[22:23], v[142:143]
	v_add_f64 v[83:84], v[166:167], v[150:151]
	v_add_f64 v[75:76], v[238:239], v[148:149]
	v_add_f64 v[44:45], v[44:45], v[220:221]
	v_add_f64 v[87:88], v[158:159], v[224:225]
	v_add_f64 v[66:67], v[160:161], v[66:67]
	v_add_f64 v[0:1], v[168:169], v[0:1]
	v_add_f64 v[85:86], v[85:86], v[222:223]
	v_add_f64 v[81:82], v[240:241], v[81:82]
	v_add_f64 v[2:3], v[16:17], v[2:3]
	v_add_f64 v[6:7], v[18:19], v[6:7]
	v_add_f64 v[8:9], v[174:175], v[8:9]
	v_add_f64 v[10:11], v[62:63], v[10:11]
	v_add_f64 v[12:13], v[95:96], v[12:13]
	v_add_f64 v[14:15], v[134:135], v[14:15]
	v_add_f64 v[16:17], v[182:183], v[28:29]
	v_add_f64 v[18:19], v[212:213], v[30:31]
	v_add_f64 v[28:29], v[108:109], v[68:69]
	v_add_f64 v[30:31], v[136:137], v[73:74]
	v_add_f64 v[20:21], v[190:191], v[20:21]
	v_add_f64 v[38:39], v[38:39], v[77:78]
	v_add_f64 v[68:69], v[71:72], v[79:80]
	v_add_f64 v[22:23], v[118:119], v[22:23]
	v_add_f64 v[70:71], v[138:139], v[83:84]
	v_add_f64 v[62:63], v[214:215], v[75:76]
	v_add_f64 v[44:45], v[56:57], v[44:45]
	v_add_f64 v[72:73], v[198:199], v[87:88]
	v_add_f64 v[66:67], v[128:129], v[66:67]
	v_add_f64 v[0:1], v[140:141], v[0:1]
	v_add_f64 v[56:57], v[218:219], v[85:86]
	v_add_f64 v[74:75], v[216:217], v[81:82]
	v_add_f64 v[2:3], v[24:25], v[2:3]
	v_add_f64 v[6:7], v[26:27], v[6:7]
	v_add_f64 v[8:9], v[172:173], v[8:9]
	v_add_f64 v[10:11], v[60:61], v[10:11]
	v_add_f64 v[12:13], v[93:94], v[12:13]
	v_add_f64 v[14:15], v[102:103], v[14:15]
	v_add_f64 v[16:17], v[180:181], v[16:17]
	v_add_f64 v[18:19], v[204:205], v[18:19]
	v_add_f64 v[24:25], v[106:107], v[28:29]
	v_add_f64 v[26:27], v[112:113], v[30:31]
	v_add_f64 v[20:21], v[188:189], v[20:21]
	v_add_f64 v[30:31], v[36:37], v[38:39]
	v_add_f64 v[36:37], v[50:51], v[68:69]
	v_add_f64 v[22:23], v[116:117], v[22:23]
	v_add_f64 v[38:39], v[122:123], v[70:71]
	v_add_f64 v[28:29], v[206:207], v[62:63]
	v_add_f64 v[44:45], v[54:55], v[44:45]
	v_add_f64 v[54:55], v[196:197], v[72:73]
	v_add_f64 v[60:61], v[126:127], v[66:67]
	v_add_f64 v[62:63], v[132:133], v[0:1]
	v_add_f64 v[50:51], v[210:211], v[56:57]
	v_add_f64 v[56:57], v[208:209], v[74:75]
	v_add_f64 v[66:67], v[4:5], v[2:3]
	v_add_f64 v[68:69], v[34:35], v[6:7]
	v_add_f64 v[2:3], v[170:171], v[8:9]
	v_add_f64 v[0:1], v[176:177], v[10:11]
	v_add_f64 v[6:7], v[91:92], v[12:13]
	v_add_f64 v[4:5], v[97:98], v[14:15]
	v_add_f64 v[10:11], v[178:179], v[16:17]
	v_add_f64 v[8:9], v[184:185], v[18:19]
	v_add_f64 v[14:15], v[104:105], v[24:25]
	v_add_f64 v[12:13], v[110:111], v[26:27]
	v_add_f64 v[18:19], v[186:187], v[20:21]
	v_add_f64 v[26:27], v[32:33], v[30:31]
	v_add_f64 v[24:25], v[42:43], v[36:37]
	v_add_f64 v[22:23], v[114:115], v[22:23]
	v_add_f64 v[20:21], v[120:121], v[38:39]
	v_add_f64 v[16:17], v[192:193], v[28:29]
	v_add_f64 v[30:31], v[202:203], v[44:45]
	v_add_f64 v[34:35], v[194:195], v[54:55]
	v_add_f64 v[38:39], v[124:125], v[60:61]
	v_add_f64 v[36:37], v[130:131], v[62:63]
	v_add_f64 v[28:29], v[58:59], v[50:51]
	v_add_f64 v[32:33], v[200:201], v[56:57]
	v_add_f64 v[42:43], v[40:41], v[66:67]
	v_add_f64 v[40:41], v[46:47], v[68:69]
	v_add_co_ci_u32_e32 v49, vcc_lo, 0, v65, vcc_lo
	v_add_co_u32 v44, vcc_lo, 0x2000, v64
	v_add_co_ci_u32_e32 v45, vcc_lo, 0, v65, vcc_lo
	v_add_co_u32 v46, vcc_lo, 0x2800, v64
	;; [unrolled: 2-line block ×3, first 2 shown]
	v_add_co_ci_u32_e32 v51, vcc_lo, 0, v65, vcc_lo
	global_store_dwordx4 v[64:65], v[24:27], off offset:1232
	global_store_dwordx4 v[100:101], v[20:23], off offset:1648
	;; [unrolled: 1-line block ×9, first 2 shown]
	global_store_dwordx4 v[64:65], v[40:43], off
	global_store_dwordx4 v[50:51], v[28:31], off offset:32
.LBB0_20:
	s_endpgm
	.section	.rodata,"a",@progbits
	.p2align	6, 0x0
	.amdhsa_kernel fft_rtc_back_len847_factors_11_7_11_wgs_231_tpt_77_halfLds_dp_ip_CI_unitstride_sbrr_dirReg
		.amdhsa_group_segment_fixed_size 0
		.amdhsa_private_segment_fixed_size 0
		.amdhsa_kernarg_size 88
		.amdhsa_user_sgpr_count 6
		.amdhsa_user_sgpr_private_segment_buffer 1
		.amdhsa_user_sgpr_dispatch_ptr 0
		.amdhsa_user_sgpr_queue_ptr 0
		.amdhsa_user_sgpr_kernarg_segment_ptr 1
		.amdhsa_user_sgpr_dispatch_id 0
		.amdhsa_user_sgpr_flat_scratch_init 0
		.amdhsa_user_sgpr_private_segment_size 0
		.amdhsa_wavefront_size32 1
		.amdhsa_uses_dynamic_stack 0
		.amdhsa_system_sgpr_private_segment_wavefront_offset 0
		.amdhsa_system_sgpr_workgroup_id_x 1
		.amdhsa_system_sgpr_workgroup_id_y 0
		.amdhsa_system_sgpr_workgroup_id_z 0
		.amdhsa_system_sgpr_workgroup_info 0
		.amdhsa_system_vgpr_workitem_id 0
		.amdhsa_next_free_vgpr 244
		.amdhsa_next_free_sgpr 36
		.amdhsa_reserve_vcc 1
		.amdhsa_reserve_flat_scratch 0
		.amdhsa_float_round_mode_32 0
		.amdhsa_float_round_mode_16_64 0
		.amdhsa_float_denorm_mode_32 3
		.amdhsa_float_denorm_mode_16_64 3
		.amdhsa_dx10_clamp 1
		.amdhsa_ieee_mode 1
		.amdhsa_fp16_overflow 0
		.amdhsa_workgroup_processor_mode 1
		.amdhsa_memory_ordered 1
		.amdhsa_forward_progress 0
		.amdhsa_shared_vgpr_count 0
		.amdhsa_exception_fp_ieee_invalid_op 0
		.amdhsa_exception_fp_denorm_src 0
		.amdhsa_exception_fp_ieee_div_zero 0
		.amdhsa_exception_fp_ieee_overflow 0
		.amdhsa_exception_fp_ieee_underflow 0
		.amdhsa_exception_fp_ieee_inexact 0
		.amdhsa_exception_int_div_zero 0
	.end_amdhsa_kernel
	.text
.Lfunc_end0:
	.size	fft_rtc_back_len847_factors_11_7_11_wgs_231_tpt_77_halfLds_dp_ip_CI_unitstride_sbrr_dirReg, .Lfunc_end0-fft_rtc_back_len847_factors_11_7_11_wgs_231_tpt_77_halfLds_dp_ip_CI_unitstride_sbrr_dirReg
                                        ; -- End function
	.section	.AMDGPU.csdata,"",@progbits
; Kernel info:
; codeLenInByte = 10388
; NumSgprs: 38
; NumVgprs: 244
; ScratchSize: 0
; MemoryBound: 1
; FloatMode: 240
; IeeeMode: 1
; LDSByteSize: 0 bytes/workgroup (compile time only)
; SGPRBlocks: 4
; VGPRBlocks: 30
; NumSGPRsForWavesPerEU: 38
; NumVGPRsForWavesPerEU: 244
; Occupancy: 4
; WaveLimiterHint : 1
; COMPUTE_PGM_RSRC2:SCRATCH_EN: 0
; COMPUTE_PGM_RSRC2:USER_SGPR: 6
; COMPUTE_PGM_RSRC2:TRAP_HANDLER: 0
; COMPUTE_PGM_RSRC2:TGID_X_EN: 1
; COMPUTE_PGM_RSRC2:TGID_Y_EN: 0
; COMPUTE_PGM_RSRC2:TGID_Z_EN: 0
; COMPUTE_PGM_RSRC2:TIDIG_COMP_CNT: 0
	.text
	.p2alignl 6, 3214868480
	.fill 48, 4, 3214868480
	.type	__hip_cuid_97b09d3996b4293b,@object ; @__hip_cuid_97b09d3996b4293b
	.section	.bss,"aw",@nobits
	.globl	__hip_cuid_97b09d3996b4293b
__hip_cuid_97b09d3996b4293b:
	.byte	0                               ; 0x0
	.size	__hip_cuid_97b09d3996b4293b, 1

	.ident	"AMD clang version 19.0.0git (https://github.com/RadeonOpenCompute/llvm-project roc-6.4.0 25133 c7fe45cf4b819c5991fe208aaa96edf142730f1d)"
	.section	".note.GNU-stack","",@progbits
	.addrsig
	.addrsig_sym __hip_cuid_97b09d3996b4293b
	.amdgpu_metadata
---
amdhsa.kernels:
  - .args:
      - .actual_access:  read_only
        .address_space:  global
        .offset:         0
        .size:           8
        .value_kind:     global_buffer
      - .offset:         8
        .size:           8
        .value_kind:     by_value
      - .actual_access:  read_only
        .address_space:  global
        .offset:         16
        .size:           8
        .value_kind:     global_buffer
      - .actual_access:  read_only
        .address_space:  global
        .offset:         24
        .size:           8
        .value_kind:     global_buffer
      - .offset:         32
        .size:           8
        .value_kind:     by_value
      - .actual_access:  read_only
        .address_space:  global
        .offset:         40
        .size:           8
        .value_kind:     global_buffer
      - .actual_access:  read_only
        .address_space:  global
        .offset:         48
        .size:           8
        .value_kind:     global_buffer
      - .offset:         56
        .size:           4
        .value_kind:     by_value
      - .actual_access:  read_only
        .address_space:  global
        .offset:         64
        .size:           8
        .value_kind:     global_buffer
      - .actual_access:  read_only
        .address_space:  global
        .offset:         72
        .size:           8
        .value_kind:     global_buffer
      - .address_space:  global
        .offset:         80
        .size:           8
        .value_kind:     global_buffer
    .group_segment_fixed_size: 0
    .kernarg_segment_align: 8
    .kernarg_segment_size: 88
    .language:       OpenCL C
    .language_version:
      - 2
      - 0
    .max_flat_workgroup_size: 231
    .name:           fft_rtc_back_len847_factors_11_7_11_wgs_231_tpt_77_halfLds_dp_ip_CI_unitstride_sbrr_dirReg
    .private_segment_fixed_size: 0
    .sgpr_count:     38
    .sgpr_spill_count: 0
    .symbol:         fft_rtc_back_len847_factors_11_7_11_wgs_231_tpt_77_halfLds_dp_ip_CI_unitstride_sbrr_dirReg.kd
    .uniform_work_group_size: 1
    .uses_dynamic_stack: false
    .vgpr_count:     244
    .vgpr_spill_count: 0
    .wavefront_size: 32
    .workgroup_processor_mode: 1
amdhsa.target:   amdgcn-amd-amdhsa--gfx1030
amdhsa.version:
  - 1
  - 2
...

	.end_amdgpu_metadata
